;; amdgpu-corpus repo=ROCm/rocFFT kind=compiled arch=gfx906 opt=O3
	.text
	.amdgcn_target "amdgcn-amd-amdhsa--gfx906"
	.amdhsa_code_object_version 6
	.protected	bluestein_single_back_len24_dim1_dp_op_CI_CI ; -- Begin function bluestein_single_back_len24_dim1_dp_op_CI_CI
	.globl	bluestein_single_back_len24_dim1_dp_op_CI_CI
	.p2align	8
	.type	bluestein_single_back_len24_dim1_dp_op_CI_CI,@function
bluestein_single_back_len24_dim1_dp_op_CI_CI: ; @bluestein_single_back_len24_dim1_dp_op_CI_CI
; %bb.0:
	s_load_dwordx4 s[0:3], s[4:5], 0x28
	v_lshrrev_b32_e32 v1, 3, v0
	v_lshl_or_b32 v40, s6, 5, v1
	v_mov_b32_e32 v41, 0
	s_waitcnt lgkmcnt(0)
	v_cmp_gt_u64_e32 vcc, s[0:1], v[40:41]
	s_and_saveexec_b64 s[0:1], vcc
	s_cbranch_execz .LBB0_15
; %bb.1:
	s_load_dwordx2 s[12:13], s[4:5], 0x0
	s_load_dwordx2 s[6:7], s[4:5], 0x38
	v_and_b32_e32 v41, 7, v0
	v_mul_u32_u24_e32 v44, 24, v1
	v_cmp_gt_u32_e32 vcc, 3, v41
	v_lshlrev_b32_e32 v43, 4, v41
	v_or_b32_e32 v32, v44, v41
	v_add_lshl_u32 v20, v44, v41, 4
	v_or_b32_e32 v42, 12, v41
	s_and_saveexec_b64 s[14:15], vcc
	s_cbranch_execz .LBB0_3
; %bb.2:
	s_load_dwordx2 s[0:1], s[4:5], 0x18
	s_waitcnt lgkmcnt(0)
	s_load_dwordx4 s[8:11], s[0:1], 0x0
	s_waitcnt lgkmcnt(0)
	v_mad_u64_u32 v[0:1], s[0:1], s10, v40, 0
	v_mad_u64_u32 v[2:3], s[0:1], s8, v41, 0
	s_mul_i32 s10, s8, 48
	v_mad_u64_u32 v[4:5], s[0:1], s11, v40, v[1:2]
	v_mad_u64_u32 v[5:6], s[0:1], s9, v41, v[3:4]
	v_mov_b32_e32 v1, v4
	v_lshlrev_b64 v[0:1], 4, v[0:1]
	v_mov_b32_e32 v3, v5
	v_mov_b32_e32 v6, s3
	v_lshlrev_b64 v[2:3], 4, v[2:3]
	v_add_co_u32_e64 v19, s[0:1], s2, v0
	v_addc_co_u32_e64 v23, s[0:1], v6, v1, s[0:1]
	v_add_co_u32_e64 v21, s[0:1], v19, v2
	v_addc_co_u32_e64 v22, s[0:1], v23, v3, s[0:1]
	v_mad_u64_u32 v[16:17], s[0:1], s8, v42, 0
	global_load_dwordx4 v[0:3], v[21:22], off
	global_load_dwordx4 v[4:7], v43, s[12:13] offset:192
	global_load_dwordx4 v[8:11], v43, s[12:13]
	global_load_dwordx4 v[12:15], v43, s[12:13] offset:48
	v_mad_u64_u32 v[17:18], s[0:1], s9, v42, v[17:18]
	s_mul_i32 s2, s9, 48
	s_mul_hi_u32 s3, s8, 48
	v_lshlrev_b64 v[16:17], 4, v[16:17]
	s_add_i32 s2, s3, s2
	v_add_co_u32_e64 v16, s[0:1], v19, v16
	v_addc_co_u32_e64 v17, s[0:1], v23, v17, s[0:1]
	global_load_dwordx4 v[16:19], v[16:17], off
	v_mov_b32_e32 v23, s2
	v_add_co_u32_e64 v25, s[0:1], s10, v21
	v_addc_co_u32_e64 v26, s[0:1], v22, v23, s[0:1]
	global_load_dwordx4 v[21:24], v[25:26], off
	v_mov_b32_e32 v27, s2
	v_add_co_u32_e64 v29, s[0:1], s10, v25
	v_addc_co_u32_e64 v30, s[0:1], v26, v27, s[0:1]
	global_load_dwordx4 v[25:28], v[29:30], off
	global_load_dwordx4 v[33:36], v43, s[12:13] offset:96
	global_load_dwordx4 v[45:48], v43, s[12:13] offset:144
	v_mov_b32_e32 v31, s2
	v_add_co_u32_e64 v29, s[0:1], s10, v29
	v_addc_co_u32_e64 v30, s[0:1], v30, v31, s[0:1]
	global_load_dwordx4 v[49:52], v[29:30], off
	v_mov_b32_e32 v31, 0x60
	v_mad_u64_u32 v[29:30], s[0:1], s8, v31, v[29:30]
	s_mul_i32 s0, s9, 0x60
	v_mov_b32_e32 v31, s2
	v_add_u32_e32 v30, s0, v30
	v_mov_b32_e32 v39, s2
	s_waitcnt vmcnt(7)
	v_mul_f64 v[37:38], v[2:3], v[10:11]
	v_mul_f64 v[10:11], v[0:1], v[10:11]
	v_fma_f64 v[0:1], v[0:1], v[8:9], v[37:38]
	v_fma_f64 v[2:3], v[2:3], v[8:9], -v[10:11]
	global_load_dwordx4 v[8:11], v43, s[12:13] offset:240
	s_waitcnt vmcnt(6)
	v_mul_f64 v[37:38], v[18:19], v[6:7]
	v_mul_f64 v[6:7], v[16:17], v[6:7]
	s_waitcnt vmcnt(5)
	v_mul_f64 v[53:54], v[23:24], v[14:15]
	v_mul_f64 v[14:15], v[21:22], v[14:15]
	v_fma_f64 v[16:17], v[16:17], v[4:5], v[37:38]
	v_fma_f64 v[18:19], v[18:19], v[4:5], -v[6:7]
	global_load_dwordx4 v[4:7], v[29:30], off
	s_waitcnt vmcnt(4)
	v_mul_f64 v[37:38], v[27:28], v[35:36]
	v_mul_f64 v[35:36], v[25:26], v[35:36]
	v_add_co_u32_e64 v29, s[0:1], s10, v29
	v_addc_co_u32_e64 v30, s[0:1], v30, v31, s[0:1]
	v_add_co_u32_e64 v61, s[0:1], s10, v29
	s_waitcnt vmcnt(2)
	v_mul_f64 v[57:58], v[51:52], v[47:48]
	v_mul_f64 v[59:60], v[49:50], v[47:48]
	v_fma_f64 v[21:22], v[21:22], v[12:13], v[53:54]
	v_fma_f64 v[23:24], v[23:24], v[12:13], -v[14:15]
	v_addc_co_u32_e64 v62, s[0:1], v30, v39, s[0:1]
	global_load_dwordx4 v[12:15], v[29:30], off
	v_fma_f64 v[25:26], v[25:26], v[33:34], v[37:38]
	v_fma_f64 v[27:28], v[27:28], v[33:34], -v[35:36]
	global_load_dwordx4 v[33:36], v43, s[12:13] offset:288
	global_load_dwordx4 v[53:56], v43, s[12:13] offset:336
	v_fma_f64 v[47:48], v[49:50], v[45:46], v[57:58]
	v_fma_f64 v[49:50], v[51:52], v[45:46], -v[59:60]
	global_load_dwordx4 v[57:60], v[61:62], off
	v_lshlrev_b32_e32 v31, 4, v32
	ds_write_b128 v31, v[0:3]
	ds_write_b128 v20, v[21:24] offset:48
	v_lshl_add_u32 v0, v44, 4, v43
	s_waitcnt vmcnt(4)
	v_mul_f64 v[29:30], v[6:7], v[10:11]
	v_mul_f64 v[10:11], v[4:5], v[10:11]
	v_fma_f64 v[4:5], v[4:5], v[8:9], v[29:30]
	v_fma_f64 v[6:7], v[6:7], v[8:9], -v[10:11]
	s_waitcnt vmcnt(2)
	v_mul_f64 v[37:38], v[14:15], v[35:36]
	v_mul_f64 v[10:11], v[12:13], v[35:36]
	s_waitcnt vmcnt(0)
	v_mul_f64 v[29:30], v[59:60], v[55:56]
	v_mul_f64 v[35:36], v[57:58], v[55:56]
	v_fma_f64 v[8:9], v[12:13], v[33:34], v[37:38]
	v_fma_f64 v[10:11], v[14:15], v[33:34], -v[10:11]
	v_fma_f64 v[12:13], v[57:58], v[53:54], v[29:30]
	v_fma_f64 v[14:15], v[59:60], v[53:54], -v[35:36]
	ds_write_b128 v0, v[25:28] offset:96
	ds_write_b128 v0, v[47:50] offset:144
	;; [unrolled: 1-line block ×6, first 2 shown]
.LBB0_3:
	s_or_b64 exec, exec, s[14:15]
	s_load_dwordx2 s[0:1], s[4:5], 0x20
	s_load_dwordx2 s[8:9], s[4:5], 0x8
	v_lshlrev_b32_e32 v45, 4, v44
	s_waitcnt lgkmcnt(0)
	s_barrier
	s_waitcnt lgkmcnt(0)
                                        ; implicit-def: $vgpr22_vgpr23
                                        ; implicit-def: $vgpr14_vgpr15
                                        ; implicit-def: $vgpr6_vgpr7
                                        ; implicit-def: $vgpr10_vgpr11
                                        ; implicit-def: $vgpr28_vgpr29
                                        ; implicit-def: $vgpr16_vgpr17
                                        ; implicit-def: $vgpr0_vgpr1
                                        ; implicit-def: $vgpr24_vgpr25
	s_and_saveexec_b64 s[2:3], vcc
	s_cbranch_execz .LBB0_5
; %bb.4:
	v_lshlrev_b32_e32 v0, 4, v32
	v_lshl_add_u32 v21, v41, 4, v45
	ds_read_b128 v[8:11], v0
	ds_read_b128 v[4:7], v21 offset:96
	ds_read_b128 v[0:3], v21 offset:144
	;; [unrolled: 1-line block ×7, first 2 shown]
.LBB0_5:
	s_or_b64 exec, exec, s[2:3]
	s_waitcnt lgkmcnt(4)
	v_add_f64 v[16:17], v[8:9], -v[16:17]
	v_add_f64 v[18:19], v[10:11], -v[18:19]
	s_waitcnt lgkmcnt(2)
	v_add_f64 v[33:34], v[4:5], -v[28:29]
	v_add_f64 v[28:29], v[6:7], -v[30:31]
	s_waitcnt lgkmcnt(1)
	v_add_f64 v[12:13], v[24:25], -v[12:13]
	v_add_f64 v[14:15], v[26:27], -v[14:15]
	s_waitcnt lgkmcnt(0)
	v_add_f64 v[20:21], v[0:1], -v[20:21]
	v_add_f64 v[22:23], v[2:3], -v[22:23]
	v_fma_f64 v[8:9], v[8:9], 2.0, -v[16:17]
	v_fma_f64 v[10:11], v[10:11], 2.0, -v[18:19]
	;; [unrolled: 1-line block ×6, first 2 shown]
	v_add_f64 v[35:36], v[16:17], -v[28:29]
	v_add_f64 v[33:34], v[33:34], v[18:19]
	v_fma_f64 v[37:38], v[0:1], 2.0, -v[20:21]
	v_fma_f64 v[46:47], v[2:3], 2.0, -v[22:23]
	v_add_f64 v[4:5], v[8:9], -v[4:5]
	v_add_f64 v[28:29], v[10:11], -v[6:7]
	;; [unrolled: 1-line block ×3, first 2 shown]
	v_add_f64 v[20:21], v[20:21], v[14:15]
	s_mov_b32 s2, 0x667f3bcd
	s_mov_b32 s3, 0xbfe6a09e
	;; [unrolled: 1-line block ×4, first 2 shown]
	v_fma_f64 v[0:1], v[16:17], 2.0, -v[35:36]
	v_fma_f64 v[2:3], v[8:9], 2.0, -v[4:5]
	;; [unrolled: 1-line block ×4, first 2 shown]
	v_add_f64 v[8:9], v[24:25], -v[37:38]
	v_add_f64 v[10:11], v[26:27], -v[46:47]
	v_fma_f64 v[18:19], v[12:13], 2.0, -v[22:23]
	v_fma_f64 v[16:17], v[14:15], 2.0, -v[20:21]
	v_fma_f64 v[12:13], v[22:23], s[4:5], v[35:36]
	v_fma_f64 v[14:15], v[20:21], s[4:5], v[33:34]
	s_barrier
	v_fma_f64 v[24:25], v[24:25], 2.0, -v[8:9]
	v_fma_f64 v[26:27], v[26:27], 2.0, -v[10:11]
	v_fma_f64 v[37:38], v[18:19], s[2:3], v[0:1]
	v_fma_f64 v[46:47], v[16:17], s[2:3], v[30:31]
	;; [unrolled: 1-line block ×4, first 2 shown]
	v_add_f64 v[12:13], v[2:3], -v[24:25]
	v_add_f64 v[14:15], v[6:7], -v[26:27]
	v_fma_f64 v[16:17], v[16:17], s[2:3], v[37:38]
	v_fma_f64 v[18:19], v[18:19], s[4:5], v[46:47]
	v_add_f64 v[24:25], v[4:5], -v[10:11]
	v_add_f64 v[26:27], v[28:29], v[8:9]
	v_fma_f64 v[8:9], v[35:36], 2.0, -v[20:21]
	v_fma_f64 v[10:11], v[33:34], 2.0, -v[22:23]
	v_lshlrev_b32_e32 v47, 3, v41
	s_and_saveexec_b64 s[2:3], vcc
	s_cbranch_execz .LBB0_7
; %bb.6:
	v_fma_f64 v[50:51], v[6:7], 2.0, -v[14:15]
	v_fma_f64 v[48:49], v[2:3], 2.0, -v[12:13]
	;; [unrolled: 1-line block ×6, first 2 shown]
	v_add_lshl_u32 v0, v44, v47, 4
	ds_write_b128 v0, v[48:51]
	ds_write_b128 v0, v[28:31] offset:16
	ds_write_b128 v0, v[33:36] offset:32
	;; [unrolled: 1-line block ×7, first 2 shown]
.LBB0_7:
	s_or_b64 exec, exec, s[2:3]
	v_lshlrev_b32_e32 v28, 5, v41
	s_load_dwordx4 s[0:3], s[0:1], 0x0
	s_waitcnt lgkmcnt(0)
	s_barrier
	global_load_dwordx4 v[4:7], v28, s[8:9]
	global_load_dwordx4 v[0:3], v28, s[8:9] offset:16
	v_lshlrev_b32_e32 v46, 4, v32
	ds_read_b128 v[28:31], v46 offset:128
	ds_read_b128 v[32:35], v46 offset:256
	s_mov_b32 s4, 0xe8584caa
	s_mov_b32 s5, 0x3febb67a
	;; [unrolled: 1-line block ×4, first 2 shown]
	v_lshl_add_u32 v45, v41, 4, v45
	s_waitcnt vmcnt(1) lgkmcnt(1)
	v_mul_f64 v[36:37], v[30:31], v[6:7]
	v_mul_f64 v[38:39], v[28:29], v[6:7]
	s_waitcnt vmcnt(0) lgkmcnt(0)
	v_mul_f64 v[48:49], v[34:35], v[2:3]
	v_mul_f64 v[50:51], v[32:33], v[2:3]
	v_fma_f64 v[36:37], v[28:29], v[4:5], -v[36:37]
	v_fma_f64 v[38:39], v[30:31], v[4:5], v[38:39]
	v_fma_f64 v[32:33], v[32:33], v[0:1], -v[48:49]
	v_fma_f64 v[34:35], v[34:35], v[0:1], v[50:51]
	ds_read_b128 v[28:31], v46
	s_waitcnt lgkmcnt(0)
	v_add_f64 v[52:53], v[28:29], v[36:37]
	v_add_f64 v[48:49], v[36:37], v[32:33]
	v_add_f64 v[50:51], v[38:39], v[34:35]
	v_add_f64 v[54:55], v[38:39], -v[34:35]
	v_add_f64 v[38:39], v[30:31], v[38:39]
	v_add_f64 v[56:57], v[36:37], -v[32:33]
	v_fma_f64 v[48:49], v[48:49], -0.5, v[28:29]
	v_fma_f64 v[50:51], v[50:51], -0.5, v[30:31]
	v_add_f64 v[28:29], v[52:53], v[32:33]
	v_add_f64 v[30:31], v[38:39], v[34:35]
	v_fma_f64 v[36:37], v[54:55], s[4:5], v[48:49]
	v_fma_f64 v[32:33], v[54:55], s[8:9], v[48:49]
	;; [unrolled: 1-line block ×4, first 2 shown]
	ds_write_b128 v46, v[28:31]
	ds_write_b128 v45, v[36:39] offset:128
	ds_write_b128 v45, v[32:35] offset:256
	s_waitcnt lgkmcnt(0)
	s_barrier
	s_and_saveexec_b64 s[4:5], vcc
	s_cbranch_execz .LBB0_9
; %bb.8:
	global_load_dwordx4 v[52:55], v43, s[12:13] offset:384
	ds_read_b128 v[48:51], v46
	s_add_u32 s8, s12, 0x180
	s_addc_u32 s9, s13, 0
	s_waitcnt vmcnt(0) lgkmcnt(0)
	v_mul_f64 v[56:57], v[50:51], v[54:55]
	v_fma_f64 v[56:57], v[48:49], v[52:53], -v[56:57]
	v_mul_f64 v[48:49], v[48:49], v[54:55]
	v_fma_f64 v[58:59], v[50:51], v[52:53], v[48:49]
	ds_write_b128 v46, v[56:59]
	ds_read_b128 v[48:51], v45 offset:48
	ds_read_b128 v[52:55], v45 offset:96
	global_load_dwordx4 v[56:59], v43, s[8:9] offset:48
	s_waitcnt vmcnt(0) lgkmcnt(1)
	v_mul_f64 v[60:61], v[50:51], v[58:59]
	v_fma_f64 v[60:61], v[48:49], v[56:57], -v[60:61]
	v_mul_f64 v[48:49], v[48:49], v[58:59]
	v_fma_f64 v[62:63], v[50:51], v[56:57], v[48:49]
	global_load_dwordx4 v[48:51], v43, s[8:9] offset:96
	ds_write_b128 v45, v[60:63] offset:48
	s_waitcnt vmcnt(0) lgkmcnt(1)
	v_mul_f64 v[56:57], v[54:55], v[50:51]
	v_mul_f64 v[50:51], v[52:53], v[50:51]
	v_fma_f64 v[56:57], v[52:53], v[48:49], -v[56:57]
	v_fma_f64 v[58:59], v[54:55], v[48:49], v[50:51]
	global_load_dwordx4 v[52:55], v43, s[8:9] offset:144
	ds_read_b128 v[48:51], v45 offset:144
	ds_write_b128 v45, v[56:59] offset:96
	s_waitcnt vmcnt(0) lgkmcnt(1)
	v_mul_f64 v[56:57], v[50:51], v[54:55]
	v_fma_f64 v[56:57], v[48:49], v[52:53], -v[56:57]
	v_mul_f64 v[48:49], v[48:49], v[54:55]
	v_fma_f64 v[58:59], v[50:51], v[52:53], v[48:49]
	global_load_dwordx4 v[52:55], v43, s[8:9] offset:192
	ds_read_b128 v[48:51], v45 offset:192
	ds_write_b128 v45, v[56:59] offset:144
	s_waitcnt vmcnt(0) lgkmcnt(1)
	v_mul_f64 v[56:57], v[50:51], v[54:55]
	v_fma_f64 v[56:57], v[48:49], v[52:53], -v[56:57]
	v_mul_f64 v[48:49], v[48:49], v[54:55]
	;; [unrolled: 8-line block ×5, first 2 shown]
	v_fma_f64 v[58:59], v[50:51], v[52:53], v[48:49]
	ds_write_b128 v45, v[56:59] offset:336
.LBB0_9:
	s_or_b64 exec, exec, s[4:5]
	s_waitcnt lgkmcnt(0)
	s_barrier
	s_and_saveexec_b64 s[4:5], vcc
	s_cbranch_execz .LBB0_11
; %bb.10:
	ds_read_b128 v[28:31], v46
	ds_read_b128 v[36:39], v45 offset:48
	ds_read_b128 v[32:35], v45 offset:96
	;; [unrolled: 1-line block ×7, first 2 shown]
.LBB0_11:
	s_or_b64 exec, exec, s[4:5]
	s_waitcnt lgkmcnt(0)
	s_barrier
	s_and_saveexec_b64 s[4:5], vcc
	s_cbranch_execz .LBB0_13
; %bb.12:
	v_add_f64 v[14:15], v[30:31], -v[14:15]
	v_add_f64 v[24:25], v[32:33], -v[24:25]
	;; [unrolled: 1-line block ×8, first 2 shown]
	v_fma_f64 v[30:31], v[30:31], 2.0, -v[14:15]
	v_add_f64 v[48:49], v[14:15], -v[24:25]
	v_fma_f64 v[38:39], v[38:39], 2.0, -v[18:19]
	v_fma_f64 v[8:9], v[8:9], 2.0, -v[20:21]
	;; [unrolled: 1-line block ×7, first 2 shown]
	v_add_f64 v[50:51], v[18:19], -v[20:21]
	v_add_f64 v[22:23], v[22:23], v[16:17]
	v_add_f64 v[52:53], v[26:27], v[12:13]
	v_add_f64 v[8:9], v[36:37], -v[8:9]
	v_add_f64 v[32:33], v[30:31], -v[34:35]
	v_fma_f64 v[34:35], v[14:15], 2.0, -v[48:49]
	v_add_f64 v[54:55], v[38:39], -v[10:11]
	v_add_f64 v[24:25], v[28:29], -v[24:25]
	v_fma_f64 v[26:27], v[18:19], 2.0, -v[50:51]
	v_fma_f64 v[16:17], v[16:17], 2.0, -v[22:23]
	;; [unrolled: 1-line block ×3, first 2 shown]
	s_mov_b32 s8, 0x667f3bcd
	s_mov_b32 s9, 0x3fe6a09e
	v_fma_f64 v[20:21], v[50:51], s[8:9], v[48:49]
	s_mov_b32 s11, 0xbfe6a09e
	s_mov_b32 s10, s8
	v_fma_f64 v[58:59], v[30:31], 2.0, -v[32:33]
	v_fma_f64 v[30:31], v[38:39], 2.0, -v[54:55]
	;; [unrolled: 1-line block ×4, first 2 shown]
	v_fma_f64 v[12:13], v[26:27], s[10:11], v[34:35]
	v_fma_f64 v[38:39], v[16:17], s[10:11], v[56:57]
	;; [unrolled: 1-line block ×4, first 2 shown]
	v_add_f64 v[14:15], v[32:33], -v[8:9]
	v_add_f64 v[22:23], v[58:59], -v[30:31]
	v_add_lshl_u32 v44, v44, v47, 4
	v_add_f64 v[20:21], v[28:29], -v[36:37]
	v_fma_f64 v[18:19], v[16:17], s[10:11], v[12:13]
	v_fma_f64 v[16:17], v[26:27], s[8:9], v[38:39]
	v_add_f64 v[12:13], v[24:25], v[54:55]
	v_fma_f64 v[8:9], v[50:51], s[8:9], v[60:61]
	v_fma_f64 v[30:31], v[32:33], 2.0, -v[14:15]
	v_fma_f64 v[38:39], v[58:59], 2.0, -v[22:23]
	;; [unrolled: 1-line block ×8, first 2 shown]
	ds_write_b128 v44, v[36:39]
	ds_write_b128 v44, v[32:35] offset:16
	ds_write_b128 v44, v[28:31] offset:32
	;; [unrolled: 1-line block ×7, first 2 shown]
.LBB0_13:
	s_or_b64 exec, exec, s[4:5]
	s_waitcnt lgkmcnt(0)
	s_barrier
	ds_read_b128 v[8:11], v46 offset:128
	ds_read_b128 v[12:15], v46 offset:256
	s_mov_b32 s4, 0xe8584caa
	s_mov_b32 s5, 0xbfebb67a
	;; [unrolled: 1-line block ×3, first 2 shown]
	s_waitcnt lgkmcnt(1)
	v_mul_f64 v[16:17], v[6:7], v[10:11]
	v_mul_f64 v[6:7], v[6:7], v[8:9]
	s_waitcnt lgkmcnt(0)
	v_mul_f64 v[18:19], v[2:3], v[14:15]
	v_mul_f64 v[2:3], v[2:3], v[12:13]
	s_mov_b32 s8, s4
	v_fma_f64 v[8:9], v[4:5], v[8:9], v[16:17]
	v_fma_f64 v[4:5], v[4:5], v[10:11], -v[6:7]
	v_fma_f64 v[6:7], v[0:1], v[12:13], v[18:19]
	v_fma_f64 v[10:11], v[0:1], v[14:15], -v[2:3]
	ds_read_b128 v[0:3], v46
	s_waitcnt lgkmcnt(0)
	v_add_f64 v[16:17], v[0:1], v[8:9]
	v_add_f64 v[12:13], v[8:9], v[6:7]
	;; [unrolled: 1-line block ×3, first 2 shown]
	v_add_f64 v[18:19], v[4:5], -v[10:11]
	v_add_f64 v[4:5], v[2:3], v[4:5]
	v_add_f64 v[20:21], v[8:9], -v[6:7]
	v_fma_f64 v[8:9], v[12:13], -0.5, v[0:1]
	v_fma_f64 v[12:13], v[14:15], -0.5, v[2:3]
	v_add_f64 v[0:1], v[16:17], v[6:7]
	v_add_f64 v[2:3], v[4:5], v[10:11]
	v_fma_f64 v[4:5], v[18:19], s[4:5], v[8:9]
	v_fma_f64 v[6:7], v[20:21], s[8:9], v[12:13]
	;; [unrolled: 1-line block ×4, first 2 shown]
	ds_write_b128 v46, v[0:3]
	ds_write_b128 v45, v[4:7] offset:128
	ds_write_b128 v45, v[8:11] offset:256
	s_waitcnt lgkmcnt(0)
	s_barrier
	s_and_b64 exec, exec, vcc
	s_cbranch_execz .LBB0_15
; %bb.14:
	global_load_dwordx4 v[0:3], v43, s[12:13]
	global_load_dwordx4 v[4:7], v43, s[12:13] offset:48
	global_load_dwordx4 v[8:11], v43, s[12:13] offset:96
	global_load_dwordx4 v[12:15], v43, s[12:13] offset:144
	global_load_dwordx4 v[16:19], v43, s[12:13] offset:192
	global_load_dwordx4 v[20:23], v43, s[12:13] offset:240
	ds_read_b128 v[24:27], v46
	ds_read_b128 v[36:39], v45 offset:144
	ds_read_b128 v[28:31], v45 offset:48
	;; [unrolled: 1-line block ×3, first 2 shown]
	v_mad_u64_u32 v[47:48], s[4:5], s2, v40, 0
	v_mad_u64_u32 v[49:50], s[8:9], s0, v41, 0
	v_mov_b32_e32 v46, s7
	s_mul_i32 s2, s1, 48
	s_mul_hi_u32 s7, s0, 48
	s_add_i32 s7, s7, s2
	s_mul_i32 s10, s0, 48
	v_mov_b32_e32 v57, s7
	s_mov_b32 s4, 0x55555555
	s_mov_b32 s5, 0x3fa55555
	s_waitcnt vmcnt(5) lgkmcnt(3)
	v_mul_f64 v[51:52], v[26:27], v[2:3]
	v_mul_f64 v[2:3], v[24:25], v[2:3]
	s_waitcnt vmcnt(4) lgkmcnt(1)
	v_mul_f64 v[53:54], v[30:31], v[6:7]
	v_mul_f64 v[6:7], v[28:29], v[6:7]
	v_fma_f64 v[51:52], v[24:25], v[0:1], v[51:52]
	v_fma_f64 v[55:56], v[0:1], v[26:27], -v[2:3]
	global_load_dwordx4 v[0:3], v43, s[12:13] offset:288
	v_fma_f64 v[28:29], v[28:29], v[4:5], v[53:54]
	v_fma_f64 v[30:31], v[4:5], v[30:31], -v[6:7]
	global_load_dwordx4 v[4:7], v43, s[12:13] offset:336
	s_waitcnt vmcnt(4)
	v_mul_f64 v[43:44], v[38:39], v[14:15]
	s_waitcnt lgkmcnt(0)
	v_mul_f64 v[24:25], v[34:35], v[10:11]
	v_mul_f64 v[10:11], v[32:33], v[10:11]
	v_mad_u64_u32 v[53:54], s[8:9], s0, v42, 0
	v_mul_f64 v[14:15], v[36:37], v[14:15]
	v_fma_f64 v[36:37], v[36:37], v[12:13], v[43:44]
	v_mov_b32_e32 v43, v48
	v_mad_u64_u32 v[43:44], s[2:3], s3, v40, v[43:44]
	v_mov_b32_e32 v40, v50
	v_mad_u64_u32 v[40:41], s[2:3], s1, v41, v[40:41]
	;; [unrolled: 2-line block ×3, first 2 shown]
	v_fma_f64 v[32:33], v[32:33], v[8:9], v[24:25]
	v_fma_f64 v[34:35], v[8:9], v[34:35], -v[10:11]
	ds_read_b128 v[8:11], v45 offset:192
	ds_read_b128 v[24:27], v45 offset:240
	v_mov_b32_e32 v48, v43
	v_mov_b32_e32 v50, v40
	;; [unrolled: 1-line block ×3, first 2 shown]
	v_lshlrev_b64 v[40:41], 4, v[47:48]
	v_lshlrev_b64 v[42:43], 4, v[49:50]
	v_add_co_u32_e32 v50, vcc, s6, v40
	v_addc_co_u32_e32 v63, vcc, v46, v41, vcc
	s_waitcnt vmcnt(3) lgkmcnt(1)
	v_mul_f64 v[46:47], v[10:11], v[18:19]
	v_mul_f64 v[18:19], v[8:9], v[18:19]
	v_fma_f64 v[38:39], v[12:13], v[38:39], -v[14:15]
	v_add_co_u32_e32 v40, vcc, v50, v42
	v_addc_co_u32_e32 v41, vcc, v63, v43, vcc
	v_add_co_u32_e32 v42, vcc, s10, v40
	v_addc_co_u32_e32 v43, vcc, v41, v57, vcc
	v_fma_f64 v[46:47], v[8:9], v[16:17], v[46:47]
	v_fma_f64 v[57:58], v[16:17], v[10:11], -v[18:19]
	s_waitcnt vmcnt(2) lgkmcnt(0)
	v_mul_f64 v[61:62], v[26:27], v[22:23]
	v_mul_f64 v[8:9], v[51:52], s[4:5]
	;; [unrolled: 1-line block ×10, first 2 shown]
	v_mov_b32_e32 v44, s7
	v_add_co_u32_e32 v48, vcc, s10, v42
	v_addc_co_u32_e32 v49, vcc, v43, v44, vcc
	v_fma_f64 v[38:39], v[24:25], v[20:21], v[61:62]
	v_mul_f64 v[22:23], v[46:47], s[4:5]
	v_mul_f64 v[24:25], v[57:58], s[4:5]
	ds_read_b128 v[12:15], v45 offset:288
	v_add_co_u32_e32 v59, vcc, s10, v48
	v_addc_co_u32_e32 v60, vcc, v49, v44, vcc
	global_store_dwordx4 v[40:41], v[8:11], off
	global_store_dwordx4 v[42:43], v[16:19], off
	;; [unrolled: 1-line block ×4, first 2 shown]
	ds_read_b128 v[8:11], v45 offset:336
	v_lshlrev_b64 v[53:54], 4, v[53:54]
	v_fma_f64 v[18:19], v[20:21], v[26:27], -v[36:37]
	v_add_co_u32_e32 v16, vcc, v50, v53
	v_addc_co_u32_e32 v17, vcc, v63, v54, vcc
	global_store_dwordx4 v[16:17], v[22:25], off
	v_mul_f64 v[16:17], v[38:39], s[4:5]
	s_waitcnt vmcnt(6) lgkmcnt(1)
	v_mul_f64 v[20:21], v[14:15], v[2:3]
	v_mul_f64 v[2:3], v[12:13], v[2:3]
	;; [unrolled: 1-line block ×3, first 2 shown]
	s_waitcnt vmcnt(5) lgkmcnt(0)
	v_mul_f64 v[22:23], v[10:11], v[6:7]
	v_mul_f64 v[6:7], v[8:9], v[6:7]
	v_mov_b32_e32 v24, 0x60
	v_fma_f64 v[12:13], v[12:13], v[0:1], v[20:21]
	v_fma_f64 v[2:3], v[0:1], v[14:15], -v[2:3]
	v_mad_u64_u32 v[14:15], s[2:3], s0, v24, v[59:60]
	v_fma_f64 v[8:9], v[8:9], v[4:5], v[22:23]
	v_fma_f64 v[6:7], v[4:5], v[10:11], -v[6:7]
	s_mul_i32 s0, s1, 0x60
	v_add_u32_e32 v15, s0, v15
	v_mul_f64 v[0:1], v[12:13], s[4:5]
	v_mul_f64 v[2:3], v[2:3], s[4:5]
	v_mov_b32_e32 v10, s7
	global_store_dwordx4 v[14:15], v[16:19], off
	v_mul_f64 v[4:5], v[8:9], s[4:5]
	v_mul_f64 v[6:7], v[6:7], s[4:5]
	v_add_co_u32_e32 v8, vcc, s10, v14
	v_addc_co_u32_e32 v9, vcc, v15, v10, vcc
	global_store_dwordx4 v[8:9], v[0:3], off
	s_nop 0
	v_mov_b32_e32 v1, s7
	v_add_co_u32_e32 v0, vcc, s10, v8
	v_addc_co_u32_e32 v1, vcc, v9, v1, vcc
	global_store_dwordx4 v[0:1], v[4:7], off
.LBB0_15:
	s_endpgm
	.section	.rodata,"a",@progbits
	.p2align	6, 0x0
	.amdhsa_kernel bluestein_single_back_len24_dim1_dp_op_CI_CI
		.amdhsa_group_segment_fixed_size 12288
		.amdhsa_private_segment_fixed_size 0
		.amdhsa_kernarg_size 104
		.amdhsa_user_sgpr_count 6
		.amdhsa_user_sgpr_private_segment_buffer 1
		.amdhsa_user_sgpr_dispatch_ptr 0
		.amdhsa_user_sgpr_queue_ptr 0
		.amdhsa_user_sgpr_kernarg_segment_ptr 1
		.amdhsa_user_sgpr_dispatch_id 0
		.amdhsa_user_sgpr_flat_scratch_init 0
		.amdhsa_user_sgpr_private_segment_size 0
		.amdhsa_uses_dynamic_stack 0
		.amdhsa_system_sgpr_private_segment_wavefront_offset 0
		.amdhsa_system_sgpr_workgroup_id_x 1
		.amdhsa_system_sgpr_workgroup_id_y 0
		.amdhsa_system_sgpr_workgroup_id_z 0
		.amdhsa_system_sgpr_workgroup_info 0
		.amdhsa_system_vgpr_workitem_id 0
		.amdhsa_next_free_vgpr 64
		.amdhsa_next_free_sgpr 16
		.amdhsa_reserve_vcc 1
		.amdhsa_reserve_flat_scratch 0
		.amdhsa_float_round_mode_32 0
		.amdhsa_float_round_mode_16_64 0
		.amdhsa_float_denorm_mode_32 3
		.amdhsa_float_denorm_mode_16_64 3
		.amdhsa_dx10_clamp 1
		.amdhsa_ieee_mode 1
		.amdhsa_fp16_overflow 0
		.amdhsa_exception_fp_ieee_invalid_op 0
		.amdhsa_exception_fp_denorm_src 0
		.amdhsa_exception_fp_ieee_div_zero 0
		.amdhsa_exception_fp_ieee_overflow 0
		.amdhsa_exception_fp_ieee_underflow 0
		.amdhsa_exception_fp_ieee_inexact 0
		.amdhsa_exception_int_div_zero 0
	.end_amdhsa_kernel
	.text
.Lfunc_end0:
	.size	bluestein_single_back_len24_dim1_dp_op_CI_CI, .Lfunc_end0-bluestein_single_back_len24_dim1_dp_op_CI_CI
                                        ; -- End function
	.section	.AMDGPU.csdata,"",@progbits
; Kernel info:
; codeLenInByte = 4152
; NumSgprs: 20
; NumVgprs: 64
; ScratchSize: 0
; MemoryBound: 0
; FloatMode: 240
; IeeeMode: 1
; LDSByteSize: 12288 bytes/workgroup (compile time only)
; SGPRBlocks: 2
; VGPRBlocks: 15
; NumSGPRsForWavesPerEU: 20
; NumVGPRsForWavesPerEU: 64
; Occupancy: 4
; WaveLimiterHint : 1
; COMPUTE_PGM_RSRC2:SCRATCH_EN: 0
; COMPUTE_PGM_RSRC2:USER_SGPR: 6
; COMPUTE_PGM_RSRC2:TRAP_HANDLER: 0
; COMPUTE_PGM_RSRC2:TGID_X_EN: 1
; COMPUTE_PGM_RSRC2:TGID_Y_EN: 0
; COMPUTE_PGM_RSRC2:TGID_Z_EN: 0
; COMPUTE_PGM_RSRC2:TIDIG_COMP_CNT: 0
	.type	__hip_cuid_96542bcd931201a6,@object ; @__hip_cuid_96542bcd931201a6
	.section	.bss,"aw",@nobits
	.globl	__hip_cuid_96542bcd931201a6
__hip_cuid_96542bcd931201a6:
	.byte	0                               ; 0x0
	.size	__hip_cuid_96542bcd931201a6, 1

	.ident	"AMD clang version 19.0.0git (https://github.com/RadeonOpenCompute/llvm-project roc-6.4.0 25133 c7fe45cf4b819c5991fe208aaa96edf142730f1d)"
	.section	".note.GNU-stack","",@progbits
	.addrsig
	.addrsig_sym __hip_cuid_96542bcd931201a6
	.amdgpu_metadata
---
amdhsa.kernels:
  - .args:
      - .actual_access:  read_only
        .address_space:  global
        .offset:         0
        .size:           8
        .value_kind:     global_buffer
      - .actual_access:  read_only
        .address_space:  global
        .offset:         8
        .size:           8
        .value_kind:     global_buffer
      - .actual_access:  read_only
        .address_space:  global
        .offset:         16
        .size:           8
        .value_kind:     global_buffer
      - .actual_access:  read_only
        .address_space:  global
        .offset:         24
        .size:           8
        .value_kind:     global_buffer
      - .actual_access:  read_only
        .address_space:  global
        .offset:         32
        .size:           8
        .value_kind:     global_buffer
      - .offset:         40
        .size:           8
        .value_kind:     by_value
      - .address_space:  global
        .offset:         48
        .size:           8
        .value_kind:     global_buffer
      - .address_space:  global
        .offset:         56
        .size:           8
        .value_kind:     global_buffer
      - .address_space:  global
        .offset:         64
        .size:           8
        .value_kind:     global_buffer
      - .address_space:  global
        .offset:         72
        .size:           8
        .value_kind:     global_buffer
      - .offset:         80
        .size:           4
        .value_kind:     by_value
      - .address_space:  global
        .offset:         88
        .size:           8
        .value_kind:     global_buffer
      - .address_space:  global
        .offset:         96
        .size:           8
        .value_kind:     global_buffer
    .group_segment_fixed_size: 12288
    .kernarg_segment_align: 8
    .kernarg_segment_size: 104
    .language:       OpenCL C
    .language_version:
      - 2
      - 0
    .max_flat_workgroup_size: 256
    .name:           bluestein_single_back_len24_dim1_dp_op_CI_CI
    .private_segment_fixed_size: 0
    .sgpr_count:     20
    .sgpr_spill_count: 0
    .symbol:         bluestein_single_back_len24_dim1_dp_op_CI_CI.kd
    .uniform_work_group_size: 1
    .uses_dynamic_stack: false
    .vgpr_count:     64
    .vgpr_spill_count: 0
    .wavefront_size: 64
amdhsa.target:   amdgcn-amd-amdhsa--gfx906
amdhsa.version:
  - 1
  - 2
...

	.end_amdgpu_metadata
